;; amdgpu-corpus repo=ROCm/rocFFT kind=compiled arch=gfx1030 opt=O3
	.text
	.amdgcn_target "amdgcn-amd-amdhsa--gfx1030"
	.amdhsa_code_object_version 6
	.protected	fft_rtc_fwd_len1122_factors_17_11_6_wgs_204_tpt_102_halfLds_sp_op_CI_CI_unitstride_sbrr_C2R_dirReg ; -- Begin function fft_rtc_fwd_len1122_factors_17_11_6_wgs_204_tpt_102_halfLds_sp_op_CI_CI_unitstride_sbrr_C2R_dirReg
	.globl	fft_rtc_fwd_len1122_factors_17_11_6_wgs_204_tpt_102_halfLds_sp_op_CI_CI_unitstride_sbrr_C2R_dirReg
	.p2align	8
	.type	fft_rtc_fwd_len1122_factors_17_11_6_wgs_204_tpt_102_halfLds_sp_op_CI_CI_unitstride_sbrr_C2R_dirReg,@function
fft_rtc_fwd_len1122_factors_17_11_6_wgs_204_tpt_102_halfLds_sp_op_CI_CI_unitstride_sbrr_C2R_dirReg: ; @fft_rtc_fwd_len1122_factors_17_11_6_wgs_204_tpt_102_halfLds_sp_op_CI_CI_unitstride_sbrr_C2R_dirReg
; %bb.0:
	s_clause 0x2
	s_load_dwordx4 s[12:15], s[4:5], 0x0
	s_load_dwordx4 s[8:11], s[4:5], 0x58
	;; [unrolled: 1-line block ×3, first 2 shown]
	v_mul_u32_u24_e32 v1, 0x283, v0
	v_mov_b32_e32 v3, 0
	v_lshrrev_b32_e32 v7, 16, v1
	v_mov_b32_e32 v1, 0
	v_mov_b32_e32 v6, v3
	v_mov_b32_e32 v2, 0
	v_lshl_add_u32 v5, s6, 1, v7
	s_waitcnt lgkmcnt(0)
	v_cmp_lt_u64_e64 s0, s[14:15], 2
	s_and_b32 vcc_lo, exec_lo, s0
	s_cbranch_vccnz .LBB0_8
; %bb.1:
	s_load_dwordx2 s[0:1], s[4:5], 0x10
	v_mov_b32_e32 v1, 0
	v_mov_b32_e32 v2, 0
	s_add_u32 s2, s18, 8
	s_addc_u32 s3, s19, 0
	s_add_u32 s6, s16, 8
	s_addc_u32 s7, s17, 0
	v_mov_b32_e32 v37, v2
	v_mov_b32_e32 v36, v1
	s_mov_b64 s[22:23], 1
	s_waitcnt lgkmcnt(0)
	s_add_u32 s20, s0, 8
	s_addc_u32 s21, s1, 0
.LBB0_2:                                ; =>This Inner Loop Header: Depth=1
	s_load_dwordx2 s[24:25], s[20:21], 0x0
                                        ; implicit-def: $vgpr38_vgpr39
	s_mov_b32 s0, exec_lo
	s_waitcnt lgkmcnt(0)
	v_or_b32_e32 v4, s25, v6
	v_cmpx_ne_u64_e32 0, v[3:4]
	s_xor_b32 s1, exec_lo, s0
	s_cbranch_execz .LBB0_4
; %bb.3:                                ;   in Loop: Header=BB0_2 Depth=1
	v_cvt_f32_u32_e32 v4, s24
	v_cvt_f32_u32_e32 v8, s25
	s_sub_u32 s0, 0, s24
	s_subb_u32 s26, 0, s25
	v_fmac_f32_e32 v4, 0x4f800000, v8
	v_rcp_f32_e32 v4, v4
	v_mul_f32_e32 v4, 0x5f7ffffc, v4
	v_mul_f32_e32 v8, 0x2f800000, v4
	v_trunc_f32_e32 v8, v8
	v_fmac_f32_e32 v4, 0xcf800000, v8
	v_cvt_u32_f32_e32 v8, v8
	v_cvt_u32_f32_e32 v4, v4
	v_mul_lo_u32 v9, s0, v8
	v_mul_hi_u32 v10, s0, v4
	v_mul_lo_u32 v11, s26, v4
	v_add_nc_u32_e32 v9, v10, v9
	v_mul_lo_u32 v10, s0, v4
	v_add_nc_u32_e32 v9, v9, v11
	v_mul_hi_u32 v11, v4, v10
	v_mul_lo_u32 v12, v4, v9
	v_mul_hi_u32 v13, v4, v9
	v_mul_hi_u32 v14, v8, v10
	v_mul_lo_u32 v10, v8, v10
	v_mul_hi_u32 v15, v8, v9
	v_mul_lo_u32 v9, v8, v9
	v_add_co_u32 v11, vcc_lo, v11, v12
	v_add_co_ci_u32_e32 v12, vcc_lo, 0, v13, vcc_lo
	v_add_co_u32 v10, vcc_lo, v11, v10
	v_add_co_ci_u32_e32 v10, vcc_lo, v12, v14, vcc_lo
	v_add_co_ci_u32_e32 v11, vcc_lo, 0, v15, vcc_lo
	v_add_co_u32 v9, vcc_lo, v10, v9
	v_add_co_ci_u32_e32 v10, vcc_lo, 0, v11, vcc_lo
	v_add_co_u32 v4, vcc_lo, v4, v9
	v_add_co_ci_u32_e32 v8, vcc_lo, v8, v10, vcc_lo
	v_mul_hi_u32 v9, s0, v4
	v_mul_lo_u32 v11, s26, v4
	v_mul_lo_u32 v10, s0, v8
	v_add_nc_u32_e32 v9, v9, v10
	v_mul_lo_u32 v10, s0, v4
	v_add_nc_u32_e32 v9, v9, v11
	v_mul_hi_u32 v11, v4, v10
	v_mul_lo_u32 v12, v4, v9
	v_mul_hi_u32 v13, v4, v9
	v_mul_hi_u32 v14, v8, v10
	v_mul_lo_u32 v10, v8, v10
	v_mul_hi_u32 v15, v8, v9
	v_mul_lo_u32 v9, v8, v9
	v_add_co_u32 v11, vcc_lo, v11, v12
	v_add_co_ci_u32_e32 v12, vcc_lo, 0, v13, vcc_lo
	v_add_co_u32 v10, vcc_lo, v11, v10
	v_add_co_ci_u32_e32 v10, vcc_lo, v12, v14, vcc_lo
	v_add_co_ci_u32_e32 v11, vcc_lo, 0, v15, vcc_lo
	v_add_co_u32 v9, vcc_lo, v10, v9
	v_add_co_ci_u32_e32 v10, vcc_lo, 0, v11, vcc_lo
	v_add_co_u32 v4, vcc_lo, v4, v9
	v_add_co_ci_u32_e32 v12, vcc_lo, v8, v10, vcc_lo
	v_mul_hi_u32 v14, v5, v4
	v_mad_u64_u32 v[10:11], null, v6, v4, 0
	v_mad_u64_u32 v[8:9], null, v5, v12, 0
	v_mad_u64_u32 v[12:13], null, v6, v12, 0
	v_add_co_u32 v4, vcc_lo, v14, v8
	v_add_co_ci_u32_e32 v8, vcc_lo, 0, v9, vcc_lo
	v_add_co_u32 v4, vcc_lo, v4, v10
	v_add_co_ci_u32_e32 v4, vcc_lo, v8, v11, vcc_lo
	v_add_co_ci_u32_e32 v8, vcc_lo, 0, v13, vcc_lo
	v_add_co_u32 v4, vcc_lo, v4, v12
	v_add_co_ci_u32_e32 v10, vcc_lo, 0, v8, vcc_lo
	v_mul_lo_u32 v11, s25, v4
	v_mad_u64_u32 v[8:9], null, s24, v4, 0
	v_mul_lo_u32 v12, s24, v10
	v_sub_co_u32 v8, vcc_lo, v5, v8
	v_add3_u32 v9, v9, v12, v11
	v_sub_nc_u32_e32 v11, v6, v9
	v_subrev_co_ci_u32_e64 v11, s0, s25, v11, vcc_lo
	v_add_co_u32 v12, s0, v4, 2
	v_add_co_ci_u32_e64 v13, s0, 0, v10, s0
	v_sub_co_u32 v14, s0, v8, s24
	v_sub_co_ci_u32_e32 v9, vcc_lo, v6, v9, vcc_lo
	v_subrev_co_ci_u32_e64 v11, s0, 0, v11, s0
	v_cmp_le_u32_e32 vcc_lo, s24, v14
	v_cmp_eq_u32_e64 s0, s25, v9
	v_cndmask_b32_e64 v14, 0, -1, vcc_lo
	v_cmp_le_u32_e32 vcc_lo, s25, v11
	v_cndmask_b32_e64 v15, 0, -1, vcc_lo
	v_cmp_le_u32_e32 vcc_lo, s24, v8
	;; [unrolled: 2-line block ×3, first 2 shown]
	v_cndmask_b32_e64 v16, 0, -1, vcc_lo
	v_cmp_eq_u32_e32 vcc_lo, s25, v11
	v_cndmask_b32_e64 v8, v16, v8, s0
	v_cndmask_b32_e32 v11, v15, v14, vcc_lo
	v_add_co_u32 v14, vcc_lo, v4, 1
	v_add_co_ci_u32_e32 v15, vcc_lo, 0, v10, vcc_lo
	v_cmp_ne_u32_e32 vcc_lo, 0, v11
	v_cndmask_b32_e32 v9, v15, v13, vcc_lo
	v_cndmask_b32_e32 v11, v14, v12, vcc_lo
	v_cmp_ne_u32_e32 vcc_lo, 0, v8
	v_cndmask_b32_e32 v39, v10, v9, vcc_lo
	v_cndmask_b32_e32 v38, v4, v11, vcc_lo
.LBB0_4:                                ;   in Loop: Header=BB0_2 Depth=1
	s_andn2_saveexec_b32 s0, s1
	s_cbranch_execz .LBB0_6
; %bb.5:                                ;   in Loop: Header=BB0_2 Depth=1
	v_cvt_f32_u32_e32 v4, s24
	s_sub_i32 s1, 0, s24
	v_mov_b32_e32 v39, v3
	v_rcp_iflag_f32_e32 v4, v4
	v_mul_f32_e32 v4, 0x4f7ffffe, v4
	v_cvt_u32_f32_e32 v4, v4
	v_mul_lo_u32 v8, s1, v4
	v_mul_hi_u32 v8, v4, v8
	v_add_nc_u32_e32 v4, v4, v8
	v_mul_hi_u32 v4, v5, v4
	v_mul_lo_u32 v8, v4, s24
	v_add_nc_u32_e32 v9, 1, v4
	v_sub_nc_u32_e32 v8, v5, v8
	v_subrev_nc_u32_e32 v10, s24, v8
	v_cmp_le_u32_e32 vcc_lo, s24, v8
	v_cndmask_b32_e32 v8, v8, v10, vcc_lo
	v_cndmask_b32_e32 v4, v4, v9, vcc_lo
	v_cmp_le_u32_e32 vcc_lo, s24, v8
	v_add_nc_u32_e32 v9, 1, v4
	v_cndmask_b32_e32 v38, v4, v9, vcc_lo
.LBB0_6:                                ;   in Loop: Header=BB0_2 Depth=1
	s_or_b32 exec_lo, exec_lo, s0
	v_mul_lo_u32 v4, v39, s24
	v_mul_lo_u32 v10, v38, s25
	s_load_dwordx2 s[0:1], s[6:7], 0x0
	v_mad_u64_u32 v[8:9], null, v38, s24, 0
	s_load_dwordx2 s[24:25], s[2:3], 0x0
	s_add_u32 s22, s22, 1
	s_addc_u32 s23, s23, 0
	s_add_u32 s2, s2, 8
	s_addc_u32 s3, s3, 0
	s_add_u32 s6, s6, 8
	v_add3_u32 v4, v9, v10, v4
	v_sub_co_u32 v5, vcc_lo, v5, v8
	s_addc_u32 s7, s7, 0
	s_add_u32 s20, s20, 8
	v_sub_co_ci_u32_e32 v4, vcc_lo, v6, v4, vcc_lo
	s_addc_u32 s21, s21, 0
	s_waitcnt lgkmcnt(0)
	v_mul_lo_u32 v6, s0, v4
	v_mul_lo_u32 v8, s1, v5
	v_mad_u64_u32 v[1:2], null, s0, v5, v[1:2]
	v_mul_lo_u32 v4, s24, v4
	v_mul_lo_u32 v9, s25, v5
	v_mad_u64_u32 v[36:37], null, s24, v5, v[36:37]
	v_cmp_ge_u64_e64 s0, s[22:23], s[14:15]
	v_add3_u32 v2, v8, v2, v6
	v_add3_u32 v37, v9, v37, v4
	s_and_b32 vcc_lo, exec_lo, s0
	s_cbranch_vccnz .LBB0_9
; %bb.7:                                ;   in Loop: Header=BB0_2 Depth=1
	v_mov_b32_e32 v5, v38
	v_mov_b32_e32 v6, v39
	s_branch .LBB0_2
.LBB0_8:
	v_mov_b32_e32 v37, v2
	v_mov_b32_e32 v39, v6
	;; [unrolled: 1-line block ×4, first 2 shown]
.LBB0_9:
	s_load_dwordx2 s[0:1], s[4:5], 0x28
	v_and_b32_e32 v3, 1, v7
	v_mul_hi_u32 v4, 0x2828283, v0
	s_lshl_b64 s[4:5], s[14:15], 3
                                        ; implicit-def: $vgpr40
	s_add_u32 s2, s18, s4
	s_addc_u32 s3, s19, s5
	s_waitcnt lgkmcnt(0)
	v_cmp_gt_u64_e32 vcc_lo, s[0:1], v[38:39]
	v_cmp_le_u64_e64 s1, s[0:1], v[38:39]
	v_cmp_eq_u32_e64 s0, 1, v3
	s_and_saveexec_b32 s6, s1
	s_xor_b32 s1, exec_lo, s6
; %bb.10:
	v_mul_u32_u24_e32 v1, 0x66, v4
                                        ; implicit-def: $vgpr4
	v_sub_nc_u32_e32 v40, v0, v1
                                        ; implicit-def: $vgpr0
                                        ; implicit-def: $vgpr1_vgpr2
; %bb.11:
	s_or_saveexec_b32 s1, s1
	s_load_dwordx2 s[2:3], s[2:3], 0x0
	v_cndmask_b32_e64 v3, 0, 0x463, s0
	v_lshlrev_b32_e32 v44, 3, v3
	s_xor_b32 exec_lo, exec_lo, s1
	s_cbranch_execz .LBB0_15
; %bb.12:
	s_add_u32 s4, s16, s4
	s_addc_u32 s5, s17, s5
	v_lshlrev_b64 v[1:2], 3, v[1:2]
	s_load_dwordx2 s[4:5], s[4:5], 0x0
	s_waitcnt lgkmcnt(0)
	v_mul_lo_u32 v7, s5, v38
	v_mul_lo_u32 v8, s4, v39
	v_mad_u64_u32 v[5:6], null, s4, v38, 0
	s_mov_b32 s4, exec_lo
	v_add3_u32 v6, v6, v8, v7
	v_mul_u32_u24_e32 v7, 0x66, v4
	v_lshlrev_b64 v[4:5], 3, v[5:6]
	v_sub_nc_u32_e32 v40, v0, v7
	v_lshlrev_b32_e32 v26, 3, v40
	v_add_co_u32 v0, s0, s8, v4
	v_add_co_ci_u32_e64 v4, s0, s9, v5, s0
	v_add_co_u32 v0, s0, v0, v1
	v_add_co_ci_u32_e64 v1, s0, v4, v2, s0
	v_add3_u32 v2, 0, v44, v26
	v_add_co_u32 v4, s0, v0, v26
	v_add_co_ci_u32_e64 v5, s0, 0, v1, s0
	v_add_nc_u32_e32 v26, 0x400, v2
	v_add_co_u32 v6, s0, 0x800, v4
	v_add_co_ci_u32_e64 v7, s0, 0, v5, s0
	v_add_co_u32 v8, s0, 0x1000, v4
	v_add_co_ci_u32_e64 v9, s0, 0, v5, s0
	;; [unrolled: 2-line block ×3, first 2 shown]
	s_clause 0xa
	global_load_dwordx2 v[12:13], v[4:5], off
	global_load_dwordx2 v[14:15], v[4:5], off offset:816
	global_load_dwordx2 v[4:5], v[4:5], off offset:1632
	;; [unrolled: 1-line block ×10, first 2 shown]
	v_add_nc_u32_e32 v27, 0x800, v2
	v_add_nc_u32_e32 v28, 0x1000, v2
	;; [unrolled: 1-line block ×3, first 2 shown]
	s_waitcnt vmcnt(9)
	ds_write2_b64 v2, v[12:13], v[14:15] offset1:102
	s_waitcnt vmcnt(7)
	ds_write2_b64 v26, v[4:5], v[16:17] offset0:76 offset1:178
	s_waitcnt vmcnt(5)
	ds_write2_b64 v27, v[18:19], v[6:7] offset0:152 offset1:254
	;; [unrolled: 2-line block ×4, first 2 shown]
	s_waitcnt vmcnt(0)
	ds_write_b64 v2, v[10:11] offset:8160
	v_cmpx_eq_u32_e32 0x65, v40
	s_cbranch_execz .LBB0_14
; %bb.13:
	v_add_co_u32 v0, s0, 0x2000, v0
	v_add_co_ci_u32_e64 v1, s0, 0, v1, s0
	v_mov_b32_e32 v40, 0x65
	global_load_dwordx2 v[0:1], v[0:1], off offset:784
	s_waitcnt vmcnt(0)
	ds_write_b64 v2, v[0:1] offset:8168
.LBB0_14:
	s_or_b32 exec_lo, exec_lo, s4
.LBB0_15:
	s_or_b32 exec_lo, exec_lo, s1
	v_lshl_add_u32 v42, v3, 3, 0
	v_lshlrev_b32_e32 v4, 3, v40
	s_waitcnt lgkmcnt(0)
	s_barrier
	buffer_gl0_inv
	s_add_u32 s1, s12, 0x2288
	v_add_nc_u32_e32 v43, v42, v4
	v_sub_nc_u32_e32 v5, v42, v4
	s_addc_u32 s4, s13, 0
	s_mov_b32 s5, exec_lo
	ds_read_b32 v1, v43
	ds_read_b32 v2, v5 offset:8976
	s_waitcnt lgkmcnt(0)
	v_add_f32_e32 v0, v2, v1
	v_sub_f32_e32 v1, v1, v2
                                        ; implicit-def: $vgpr2_vgpr3
	v_cmpx_ne_u32_e32 0, v40
	s_xor_b32 s5, exec_lo, s5
	s_cbranch_execz .LBB0_17
; %bb.16:
	v_mov_b32_e32 v41, 0
	v_lshlrev_b64 v[2:3], 3, v[40:41]
	v_add_co_u32 v2, s0, s1, v2
	v_add_co_ci_u32_e64 v3, s0, s4, v3, s0
	global_load_dwordx2 v[2:3], v[2:3], off
	ds_read_b32 v6, v5 offset:8980
	ds_read_b32 v7, v43 offset:4
	s_waitcnt lgkmcnt(0)
	v_add_f32_e32 v10, v6, v7
	v_sub_f32_e32 v6, v7, v6
	s_waitcnt vmcnt(0)
	v_fma_f32 v11, v1, v3, v0
	v_fma_f32 v7, v10, v3, v6
	v_fma_f32 v8, -v1, v3, v0
	v_fma_f32 v9, v10, v3, -v6
                                        ; implicit-def: $vgpr0
	v_fma_f32 v6, -v2, v10, v11
	v_fmac_f32_e32 v7, v1, v2
	v_fmac_f32_e32 v8, v2, v10
	;; [unrolled: 1-line block ×3, first 2 shown]
	v_mov_b32_e32 v2, v40
	v_mov_b32_e32 v3, v41
	ds_write_b64 v43, v[6:7]
	ds_write_b64 v5, v[8:9] offset:8976
.LBB0_17:
	s_andn2_saveexec_b32 s0, s5
	s_cbranch_execz .LBB0_19
; %bb.18:
	ds_write_b64 v43, v[0:1]
	ds_read_b64 v[0:1], v42 offset:4488
	v_mov_b32_e32 v2, 0
	v_mov_b32_e32 v3, 0
	s_waitcnt lgkmcnt(0)
	v_add_f32_e32 v0, v0, v0
	v_mul_f32_e32 v1, -2.0, v1
	ds_write_b64 v42, v[0:1] offset:4488
.LBB0_19:
	s_or_b32 exec_lo, exec_lo, s0
	v_lshlrev_b64 v[0:1], 3, v[2:3]
	v_add_co_u32 v0, s0, s1, v0
	v_add_co_ci_u32_e64 v1, s0, s4, v1, s0
	s_mov_b32 s1, exec_lo
	s_clause 0x1
	global_load_dwordx2 v[2:3], v[0:1], off offset:816
	global_load_dwordx2 v[6:7], v[0:1], off offset:1632
	v_add_co_u32 v0, s0, 0x800, v0
	v_add_co_ci_u32_e64 v1, s0, 0, v1, s0
	s_clause 0x1
	global_load_dwordx2 v[8:9], v[0:1], off offset:400
	global_load_dwordx2 v[10:11], v[0:1], off offset:1216
	ds_read_b64 v[12:13], v43 offset:816
	ds_read_b64 v[14:15], v5 offset:8160
	s_waitcnt lgkmcnt(0)
	v_add_f32_e32 v16, v12, v14
	v_add_f32_e32 v17, v15, v13
	v_sub_f32_e32 v18, v12, v14
	v_sub_f32_e32 v12, v13, v15
	s_waitcnt vmcnt(3)
	v_fma_f32 v19, v18, v3, v16
	v_fma_f32 v13, v17, v3, v12
	v_fma_f32 v14, -v18, v3, v16
	v_fma_f32 v15, v17, v3, -v12
	v_fma_f32 v12, -v2, v17, v19
	v_fmac_f32_e32 v13, v18, v2
	v_fmac_f32_e32 v14, v2, v17
	v_fmac_f32_e32 v15, v18, v2
	ds_write_b64 v43, v[12:13] offset:816
	ds_write_b64 v5, v[14:15] offset:8160
	ds_read_b64 v[2:3], v43 offset:1632
	ds_read_b64 v[12:13], v5 offset:7344
	s_waitcnt lgkmcnt(0)
	v_add_f32_e32 v14, v2, v12
	v_add_f32_e32 v15, v13, v3
	v_sub_f32_e32 v16, v2, v12
	v_sub_f32_e32 v2, v3, v13
	s_waitcnt vmcnt(2)
	v_fma_f32 v17, v16, v7, v14
	v_fma_f32 v3, v15, v7, v2
	v_fma_f32 v12, -v16, v7, v14
	v_fma_f32 v13, v15, v7, -v2
	v_fma_f32 v2, -v6, v15, v17
	v_fmac_f32_e32 v3, v16, v6
	v_fmac_f32_e32 v12, v6, v15
	v_fmac_f32_e32 v13, v16, v6
	ds_write_b64 v43, v[2:3] offset:1632
	ds_write_b64 v5, v[12:13] offset:7344
	ds_read_b64 v[2:3], v43 offset:2448
	ds_read_b64 v[6:7], v5 offset:6528
	s_waitcnt lgkmcnt(0)
	v_add_f32_e32 v12, v2, v6
	v_add_f32_e32 v13, v7, v3
	v_sub_f32_e32 v14, v2, v6
	v_sub_f32_e32 v2, v3, v7
	s_waitcnt vmcnt(1)
	v_fma_f32 v15, v14, v9, v12
	v_fma_f32 v3, v13, v9, v2
	v_fma_f32 v6, -v14, v9, v12
	v_fma_f32 v7, v13, v9, -v2
	v_fma_f32 v2, -v8, v13, v15
	v_fmac_f32_e32 v3, v14, v8
	v_fmac_f32_e32 v6, v8, v13
	v_fmac_f32_e32 v7, v14, v8
	ds_write_b64 v43, v[2:3] offset:2448
	ds_write_b64 v5, v[6:7] offset:6528
	ds_read_b64 v[2:3], v43 offset:3264
	ds_read_b64 v[6:7], v5 offset:5712
	s_waitcnt lgkmcnt(0)
	v_add_f32_e32 v8, v2, v6
	v_add_f32_e32 v9, v7, v3
	v_sub_f32_e32 v12, v2, v6
	v_sub_f32_e32 v2, v3, v7
	s_waitcnt vmcnt(0)
	v_fma_f32 v13, v12, v11, v8
	v_fma_f32 v3, v9, v11, v2
	v_fma_f32 v6, -v12, v11, v8
	v_fma_f32 v7, v9, v11, -v2
	v_fma_f32 v2, -v10, v9, v13
	v_fmac_f32_e32 v3, v12, v10
	v_fmac_f32_e32 v6, v10, v9
	v_fmac_f32_e32 v7, v12, v10
	ds_write_b64 v43, v[2:3] offset:3264
	ds_write_b64 v5, v[6:7] offset:5712
	v_cmpx_gt_u32_e32 51, v40
	s_cbranch_execz .LBB0_21
; %bb.20:
	global_load_dwordx2 v[0:1], v[0:1], off offset:2032
	ds_read_b64 v[2:3], v43 offset:4080
	ds_read_b64 v[6:7], v5 offset:4896
	s_waitcnt lgkmcnt(0)
	v_add_f32_e32 v8, v2, v6
	v_add_f32_e32 v9, v7, v3
	v_sub_f32_e32 v10, v2, v6
	v_sub_f32_e32 v3, v3, v7
	s_waitcnt vmcnt(0)
	v_fma_f32 v11, v10, v1, v8
	v_fma_f32 v2, v9, v1, v3
	v_fma_f32 v6, -v10, v1, v8
	v_fma_f32 v7, v9, v1, -v3
	v_fma_f32 v1, -v0, v9, v11
	v_fmac_f32_e32 v2, v10, v0
	v_fmac_f32_e32 v6, v0, v9
	;; [unrolled: 1-line block ×3, first 2 shown]
	ds_write_b64 v43, v[1:2] offset:4080
	ds_write_b64 v5, v[6:7] offset:4896
.LBB0_21:
	s_or_b32 exec_lo, exec_lo, s1
	v_add3_u32 v41, 0, v4, v44
	s_waitcnt lgkmcnt(0)
	s_barrier
	buffer_gl0_inv
	v_add_nc_u32_e32 v0, 0x1c00, v41
	s_barrier
	buffer_gl0_inv
	v_add_nc_u32_e32 v45, 0x400, v41
	ds_read2_b64 v[24:27], v41 offset0:66 offset1:132
	ds_read2_b64 v[4:7], v0 offset0:94 offset1:160
	v_add_nc_u32_e32 v47, 0x1800, v41
	ds_read2_b64 v[20:23], v45 offset0:70 offset1:136
	ds_read2_b64 v[8:11], v47 offset0:90 offset1:156
	ds_read_b64 v[0:1], v43
	v_add_nc_u32_e32 v49, 0x800, v41
	v_add_nc_u32_e32 v2, 0x1400, v41
	ds_read2_b64 v[28:31], v49 offset0:74 offset1:140
	ds_read2_b64 v[12:15], v2 offset0:86 offset1:152
	v_add_nc_u32_e32 v48, 0xc00, v41
	v_add_nc_u32_e32 v46, 0x1000, v41
	s_mov_b32 s1, exec_lo
	s_waitcnt lgkmcnt(5)
	v_sub_f32_e32 v69, v25, v7
	v_add_f32_e32 v55, v6, v24
	v_sub_f32_e32 v76, v24, v6
	v_sub_f32_e32 v68, v27, v5
	v_add_f32_e32 v57, v7, v25
	v_mul_f32_e32 v98, 0xbf4c4adb, v69
	v_add_f32_e32 v53, v4, v26
	v_sub_f32_e32 v75, v26, v4
	s_waitcnt lgkmcnt(3)
	v_sub_f32_e32 v67, v21, v11
	v_mul_f32_e32 v102, 0xbf4c4adb, v76
	v_mul_f32_e32 v97, 0x3f763a35, v68
	v_fmamk_f32 v2, v55, 0xbf1a4643, v98
	v_add_f32_e32 v56, v5, v27
	v_add_f32_e32 v51, v10, v20
	v_mul_f32_e32 v101, 0x3f763a35, v75
	v_mul_f32_e32 v95, 0xbeb8f4ab, v67
	v_fma_f32 v3, 0xbf1a4643, v57, -v102
	v_fmamk_f32 v16, v53, 0xbe8c1d8e, v97
	s_waitcnt lgkmcnt(2)
	v_add_f32_e32 v2, v0, v2
	v_fma_f32 v17, 0xbe8c1d8e, v56, -v101
	v_fmamk_f32 v18, v51, 0x3f6eb680, v95
	v_add_f32_e32 v3, v1, v3
	v_sub_f32_e32 v73, v20, v10
	v_add_f32_e32 v2, v16, v2
	v_add_f32_e32 v54, v11, v21
	v_sub_f32_e32 v70, v22, v8
	v_add_f32_e32 v3, v17, v3
	v_sub_f32_e32 v66, v23, v9
	v_add_f32_e32 v2, v18, v2
	ds_read2_b64 v[32:35], v48 offset0:78 offset1:144
	ds_read2_b64 v[16:19], v46 offset0:82 offset1:148
	v_mul_f32_e32 v99, 0xbeb8f4ab, v73
	v_add_f32_e32 v50, v8, v22
	v_add_f32_e32 v52, v9, v23
	v_mul_f32_e32 v96, 0xbf06c442, v66
	v_mul_f32_e32 v100, 0xbf06c442, v70
	v_fma_f32 v58, 0x3f6eb680, v54, -v99
	s_waitcnt lgkmcnt(2)
	v_sub_f32_e32 v78, v29, v15
	v_sub_f32_e32 v80, v28, v14
	v_fmamk_f32 v59, v50, 0xbf59a7d5, v96
	v_fma_f32 v61, 0xbf59a7d5, v52, -v100
	v_add_f32_e32 v3, v58, v3
	v_add_f32_e32 v58, v14, v28
	v_mul_f32_e32 v104, 0x3f7ee86f, v78
	v_add_f32_e32 v60, v15, v29
	v_mul_f32_e32 v107, 0x3f7ee86f, v80
	v_sub_f32_e32 v77, v31, v13
	v_sub_f32_e32 v81, v30, v12
	v_add_f32_e32 v2, v59, v2
	v_add_f32_e32 v3, v61, v3
	v_fmamk_f32 v62, v58, 0x3dbcf732, v104
	v_fma_f32 v63, 0x3dbcf732, v60, -v107
	v_add_f32_e32 v59, v12, v30
	v_mul_f32_e32 v105, 0xbf2c7751, v77
	v_add_f32_e32 v61, v13, v31
	v_mul_f32_e32 v108, 0xbf2c7751, v81
	s_waitcnt lgkmcnt(0)
	v_sub_f32_e32 v72, v33, v19
	v_sub_f32_e32 v79, v32, v18
	v_add_f32_e32 v2, v62, v2
	v_add_f32_e32 v3, v63, v3
	v_fmamk_f32 v63, v59, 0x3f3d2fb0, v105
	v_fma_f32 v65, 0x3f3d2fb0, v61, -v108
	v_add_f32_e32 v62, v18, v32
	v_mul_f32_e32 v106, 0xbe3c28d5, v72
	v_add_f32_e32 v64, v19, v33
	v_mul_f32_e32 v109, 0xbe3c28d5, v79
	v_sub_f32_e32 v71, v35, v17
	v_sub_f32_e32 v74, v34, v16
	v_add_f32_e32 v2, v63, v2
	v_add_f32_e32 v3, v65, v3
	v_fmamk_f32 v82, v62, 0xbf7ba420, v106
	v_fma_f32 v83, 0xbf7ba420, v64, -v109
	v_add_f32_e32 v63, v16, v34
	v_add_f32_e32 v65, v17, v35
	v_mul_f32_e32 v103, 0x3f65296c, v71
	v_mul_f32_e32 v111, 0x3f65296c, v74
	v_add_f32_e32 v2, v82, v2
	v_add_f32_e32 v3, v83, v3
	v_fmamk_f32 v82, v63, 0x3ee437d1, v103
	v_fma_f32 v83, 0x3ee437d1, v65, -v111
	s_barrier
	buffer_gl0_inv
	v_add_f32_e32 v2, v82, v2
	v_add_f32_e32 v3, v83, v3
	v_cmpx_gt_u32_e32 0x42, v40
	s_cbranch_execz .LBB0_23
; %bb.22:
	v_mul_f32_e32 v93, 0xbe3c28d5, v76
	v_mul_f32_e32 v88, 0x3eb8f4ab, v75
	;; [unrolled: 1-line block ×5, first 2 shown]
	v_fmamk_f32 v87, v57, 0xbf7ba420, v93
	v_fmamk_f32 v89, v56, 0x3f6eb680, v88
	v_fma_f32 v94, 0xbf7ba420, v55, -v90
	v_mul_f32_e32 v85, 0x3f2c7751, v70
	v_mul_f32_e32 v91, 0xbf06c442, v67
	v_add_f32_e32 v87, v1, v87
	v_fmamk_f32 v110, v54, 0xbf59a7d5, v86
	v_fma_f32 v112, 0x3f6eb680, v53, -v92
	v_add_f32_e32 v114, v0, v94
	v_mul_f32_e32 v84, 0xbf4c4adb, v80
	v_add_f32_e32 v87, v89, v87
	v_mul_f32_e32 v89, 0x3f2c7751, v66
	v_fmamk_f32 v113, v52, 0x3f3d2fb0, v85
	v_add_f32_e32 v112, v112, v114
	v_mul_f32_e32 v82, 0x3f65296c, v81
	v_add_f32_e32 v87, v110, v87
	v_fma_f32 v110, 0xbf59a7d5, v51, -v91
	v_mul_f32_e32 v94, 0xbf4c4adb, v78
	v_fmamk_f32 v115, v60, 0xbf1a4643, v84
	v_fma_f32 v114, 0x3f3d2fb0, v50, -v89
	v_add_f32_e32 v113, v113, v87
	v_add_f32_e32 v110, v110, v112
	v_mul_f32_e32 v83, 0xbf763a35, v79
	v_mul_f32_e32 v87, 0x3f65296c, v77
	v_fmamk_f32 v116, v61, 0x3ee437d1, v82
	v_add_f32_e32 v112, v115, v113
	v_add_f32_e32 v25, v1, v25
	v_fma_f32 v113, 0xbf1a4643, v58, -v94
	v_add_f32_e32 v110, v114, v110
	v_add_f32_e32 v114, v0, v24
	v_fmamk_f32 v115, v64, 0xbe8c1d8e, v83
	v_add_f32_e32 v112, v116, v112
	v_fma_f32 v116, 0x3ee437d1, v59, -v87
	v_add_f32_e32 v110, v113, v110
	v_add_f32_e32 v25, v25, v27
	v_add_f32_e32 v27, v114, v26
	v_mul_f32_e32 v114, 0xbf06c442, v76
	v_mul_f32_e32 v24, 0x3f7ee86f, v74
	v_add_f32_e32 v115, v115, v112
	v_mul_f32_e32 v26, 0xbf763a35, v72
	v_add_f32_e32 v113, v116, v110
	v_add_f32_e32 v21, v25, v21
	;; [unrolled: 1-line block ×3, first 2 shown]
	v_fmamk_f32 v112, v57, 0xbf59a7d5, v114
	v_mul_f32_e32 v110, 0x3f65296c, v75
	v_fma_f32 v27, 0xbe8c1d8e, v62, -v26
	v_mul_f32_e32 v25, 0x3f7ee86f, v71
	v_add_f32_e32 v23, v21, v23
	v_add_f32_e32 v22, v20, v22
	;; [unrolled: 1-line block ×3, first 2 shown]
	v_fmamk_f32 v21, v56, 0x3ee437d1, v110
	v_mul_f32_e32 v112, 0xbf7ee86f, v73
	v_fmamk_f32 v116, v65, 0x3dbcf732, v24
	v_add_f32_e32 v27, v27, v113
	v_fma_f32 v117, 0x3dbcf732, v63, -v25
	v_add_f32_e32 v118, v21, v20
	v_fmamk_f32 v119, v54, 0x3dbcf732, v112
	v_mul_f32_e32 v113, 0x3f4c4adb, v70
	v_add_f32_e32 v21, v116, v115
	v_mul_f32_e32 v115, 0xbf06c442, v69
	v_add_f32_e32 v20, v117, v27
	v_add_f32_e32 v117, v119, v118
	v_fmamk_f32 v118, v52, 0xbf1a4643, v113
	v_mul_f32_e32 v116, 0x3f65296c, v68
	v_fma_f32 v119, 0xbf59a7d5, v55, -v115
	v_add_f32_e32 v23, v23, v29
	v_add_f32_e32 v22, v22, v28
	;; [unrolled: 1-line block ×3, first 2 shown]
	v_fma_f32 v29, 0x3ee437d1, v53, -v116
	v_add_f32_e32 v28, v0, v119
	v_mul_f32_e32 v117, 0xbf7ee86f, v67
	v_mul_f32_e32 v27, 0xbeb8f4ab, v80
	v_add_f32_e32 v23, v23, v31
	v_add_f32_e32 v22, v22, v30
	;; [unrolled: 1-line block ×3, first 2 shown]
	v_fma_f32 v31, 0x3dbcf732, v51, -v117
	v_mul_f32_e32 v29, 0x3f4c4adb, v66
	v_fmamk_f32 v119, v60, 0x3f6eb680, v27
	v_mul_f32_e32 v28, 0xbe3c28d5, v81
	v_add_f32_e32 v23, v23, v33
	v_add_f32_e32 v31, v31, v30
	v_fma_f32 v33, 0xbf1a4643, v50, -v29
	v_mul_f32_e32 v30, 0xbeb8f4ab, v78
	v_add_f32_e32 v22, v22, v32
	v_add_f32_e32 v118, v119, v118
	v_fmamk_f32 v32, v61, 0xbf7ba420, v28
	v_add_f32_e32 v119, v23, v35
	v_add_f32_e32 v23, v33, v31
	v_fma_f32 v35, 0x3f6eb680, v58, -v30
	v_add_f32_e32 v120, v22, v34
	v_mul_f32_e32 v31, 0xbe3c28d5, v77
	v_mul_f32_e32 v33, 0x3f2c7751, v79
	;; [unrolled: 1-line block ×3, first 2 shown]
	v_add_f32_e32 v22, v32, v118
	v_add_f32_e32 v23, v35, v23
	v_fma_f32 v35, 0xbf7ba420, v59, -v31
	v_mul_f32_e32 v32, 0x3f2c7751, v72
	v_fmamk_f32 v118, v64, 0x3f3d2fb0, v33
	v_mul_f32_e32 v121, 0xbe8c1d8e, v56
	v_add_f32_e32 v102, v102, v34
	v_mul_f32_e32 v34, 0xbf763a35, v74
	v_add_f32_e32 v23, v35, v23
	v_fma_f32 v35, 0x3f3d2fb0, v62, -v32
	v_add_f32_e32 v101, v101, v121
	v_add_f32_e32 v102, v1, v102
	v_mul_f32_e32 v121, 0x3f6eb680, v54
	v_add_f32_e32 v22, v118, v22
	v_fmamk_f32 v118, v65, 0xbe8c1d8e, v34
	v_add_f32_e32 v122, v35, v23
	v_add_f32_e32 v101, v101, v102
	v_add_f32_e32 v99, v99, v121
	v_mul_f32_e32 v102, 0xbf59a7d5, v52
	v_add_f32_e32 v23, v118, v22
	v_mul_f32_e32 v22, 0xbf1a4643, v55
	v_mul_f32_e32 v35, 0xbf763a35, v71
	v_add_f32_e32 v99, v99, v101
	v_add_f32_e32 v100, v100, v102
	v_mul_f32_e32 v101, 0xbe8c1d8e, v53
	v_sub_f32_e32 v22, v22, v98
	v_fma_f32 v98, 0xbe8c1d8e, v63, -v35
	v_mul_f32_e32 v102, 0x3dbcf732, v60
	v_add_f32_e32 v99, v100, v99
	v_sub_f32_e32 v97, v101, v97
	v_add_f32_e32 v100, v0, v22
	v_mul_f32_e32 v101, 0x3f6eb680, v51
	v_add_f32_e32 v102, v107, v102
	v_add_f32_e32 v22, v98, v122
	v_mul_f32_e32 v98, 0x3f3d2fb0, v61
	v_add_f32_e32 v97, v97, v100
	v_sub_f32_e32 v95, v101, v95
	v_add_f32_e32 v99, v102, v99
	v_mul_f32_e32 v100, 0xbf59a7d5, v50
	v_add_f32_e32 v98, v108, v98
	v_mul_f32_e32 v101, 0x3dbcf732, v58
	;; [unrolled: 2-line block ×3, first 2 shown]
	v_sub_f32_e32 v96, v100, v96
	v_add_f32_e32 v98, v98, v99
	v_mul_f32_e32 v107, 0xbf763a35, v76
	v_mul_f32_e32 v100, 0x3f3d2fb0, v59
	v_add_f32_e32 v97, v109, v97
	v_add_f32_e32 v95, v96, v95
	v_sub_f32_e32 v101, v101, v104
	v_mul_f32_e32 v108, 0x3f06c442, v75
	v_mul_f32_e32 v99, 0xbf7ba420, v62
	v_add_f32_e32 v102, v97, v98
	v_fmamk_f32 v97, v57, 0xbe8c1d8e, v107
	v_mul_f32_e32 v96, 0x3ee437d1, v65
	v_add_f32_e32 v95, v101, v95
	v_sub_f32_e32 v98, v100, v105
	v_fmamk_f32 v100, v56, 0xbf59a7d5, v108
	v_add_f32_e32 v97, v1, v97
	v_mul_f32_e32 v109, 0x3f2c7751, v73
	v_add_f32_e32 v96, v111, v96
	v_add_f32_e32 v95, v98, v95
	v_sub_f32_e32 v98, v99, v106
	v_add_f32_e32 v97, v100, v97
	v_fmamk_f32 v99, v54, 0x3f3d2fb0, v109
	v_mul_f32_e32 v111, 0xbf65296c, v70
	v_add_f32_e32 v16, v120, v16
	v_mul_f32_e32 v101, 0xbf763a35, v69
	v_add_f32_e32 v17, v119, v17
	v_add_f32_e32 v97, v99, v97
	v_fmamk_f32 v100, v52, 0x3ee437d1, v111
	v_add_f32_e32 v16, v16, v18
	v_fma_f32 v18, 0xbe8c1d8e, v55, -v101
	v_mul_f32_e32 v99, 0x3f06c442, v68
	v_add_f32_e32 v17, v17, v19
	v_add_f32_e32 v95, v98, v95
	;; [unrolled: 1-line block ×4, first 2 shown]
	v_fma_f32 v19, 0xbf59a7d5, v53, -v99
	v_add_f32_e32 v12, v16, v12
	v_mul_f32_e32 v97, 0x3f2c7751, v67
	v_mul_f32_e32 v104, 0xbe3c28d5, v80
	v_mul_f32_e32 v118, 0x3ee437d1, v63
	v_add_f32_e32 v16, v19, v18
	v_add_f32_e32 v14, v12, v14
	v_fma_f32 v12, 0x3f3d2fb0, v51, -v97
	v_mul_f32_e32 v19, 0xbf65296c, v66
	v_fmamk_f32 v100, v60, 0xbf7ba420, v104
	v_add_f32_e32 v13, v17, v13
	v_mul_f32_e32 v105, 0x3f7ee86f, v81
	v_add_f32_e32 v12, v12, v16
	v_fma_f32 v16, 0x3ee437d1, v50, -v19
	v_mul_f32_e32 v18, 0xbe3c28d5, v78
	v_add_f32_e32 v15, v13, v15
	v_add_f32_e32 v13, v100, v98
	v_fmamk_f32 v17, v61, 0x3dbcf732, v105
	v_sub_f32_e32 v100, v118, v103
	v_add_f32_e32 v16, v16, v12
	v_fma_f32 v118, 0xbf7ba420, v58, -v18
	v_add_f32_e32 v9, v15, v9
	v_add_f32_e32 v103, v17, v13
	v_mul_f32_e32 v17, 0x3f7ee86f, v77
	v_add_f32_e32 v12, v100, v95
	v_add_f32_e32 v95, v118, v16
	;; [unrolled: 1-line block ×3, first 2 shown]
	v_mul_f32_e32 v118, 0xbf7ee86f, v76
	v_add_f32_e32 v13, v96, v102
	v_fma_f32 v96, 0x3dbcf732, v59, -v17
	v_add_f32_e32 v9, v9, v11
	v_add_f32_e32 v8, v8, v10
	v_fmamk_f32 v10, v57, 0x3dbcf732, v118
	v_mul_f32_e32 v119, 0xbe3c28d5, v75
	v_add_f32_e32 v14, v96, v95
	v_mul_f32_e32 v96, 0xbeb8f4ab, v72
	v_add_f32_e32 v5, v9, v5
	v_add_f32_e32 v4, v8, v4
	;; [unrolled: 1-line block ×3, first 2 shown]
	v_fmamk_f32 v9, v56, 0xbf7ba420, v119
	v_mul_f32_e32 v100, 0x3f763a35, v73
	v_mul_f32_e32 v98, 0xbeb8f4ab, v79
	v_add_f32_e32 v5, v5, v7
	v_add_f32_e32 v4, v4, v6
	v_fma_f32 v6, 0x3f6eb680, v62, -v96
	v_mul_f32_e32 v95, 0xbf4c4adb, v71
	v_add_f32_e32 v7, v9, v8
	v_mul_f32_e32 v130, 0xbf7ee86f, v69
	v_fmamk_f32 v8, v54, 0xbe8c1d8e, v100
	v_mul_f32_e32 v123, 0x3eb8f4ab, v70
	v_fmamk_f32 v106, v64, 0x3f6eb680, v98
	v_mul_f32_e32 v16, 0xbf4c4adb, v74
	v_add_f32_e32 v6, v6, v14
	v_fma_f32 v10, 0x3dbcf732, v55, -v130
	v_mul_f32_e32 v131, 0xbe3c28d5, v68
	v_fma_f32 v11, 0xbf1a4643, v63, -v95
	v_add_f32_e32 v8, v8, v7
	v_fmamk_f32 v14, v52, 0x3f6eb680, v123
	v_mul_f32_e32 v134, 0xbf65296c, v80
	v_add_f32_e32 v102, v106, v103
	v_fmamk_f32 v9, v65, 0xbf1a4643, v16
	v_add_f32_e32 v10, v0, v10
	v_fma_f32 v15, 0xbf7ba420, v53, -v131
	v_mul_f32_e32 v132, 0x3f763a35, v67
	v_add_f32_e32 v6, v11, v6
	v_add_f32_e32 v8, v14, v8
	v_fmamk_f32 v11, v60, 0x3ee437d1, v134
	v_mul_f32_e32 v135, 0xbf06c442, v81
	v_add_f32_e32 v7, v9, v102
	v_add_f32_e32 v9, v15, v10
	v_fma_f32 v10, 0xbe8c1d8e, v51, -v132
	v_mul_f32_e32 v127, 0x3eb8f4ab, v66
	v_add_f32_e32 v8, v11, v8
	v_fmamk_f32 v11, v61, 0xbf59a7d5, v135
	v_mul_f32_e32 v136, 0x3f4c4adb, v79
	v_add_f32_e32 v9, v10, v9
	v_fma_f32 v10, 0x3f6eb680, v50, -v127
	v_mul_f32_e32 v128, 0xbf65296c, v78
	v_add_f32_e32 v8, v11, v8
	v_fmamk_f32 v11, v64, 0xbf1a4643, v136
	v_mul_f32_e32 v143, 0xbf65296c, v76
	;; [unrolled: 6-line block ×5, first 2 shown]
	v_add_f32_e32 v10, v10, v9
	v_fmamk_f32 v9, v65, 0x3f3d2fb0, v145
	v_mul_f32_e32 v124, 0x3f2c7751, v71
	v_add_f32_e32 v11, v14, v11
	v_fmamk_f32 v14, v52, 0xbe8c1d8e, v102
	v_mul_f32_e32 v103, 0x3f2c7751, v80
	v_add_f32_e32 v9, v9, v8
	v_fma_f32 v8, 0x3f3d2fb0, v63, -v124
	v_mul_f32_e32 v146, 0xbf65296c, v69
	v_add_f32_e32 v11, v14, v11
	v_fmamk_f32 v14, v60, 0x3f3d2fb0, v103
	v_mul_f32_e32 v120, 0xbeb8f4ab, v81
	v_add_f32_e32 v8, v8, v10
	v_fma_f32 v10, 0x3ee437d1, v55, -v146
	;; [unrolled: 6-line block ×5, first 2 shown]
	v_mul_f32_e32 v148, 0x3f2c7751, v78
	v_add_f32_e32 v14, v1, v14
	v_fmamk_f32 v137, v56, 0x3dbcf732, v149
	v_mul_f32_e32 v151, 0xbf4c4adb, v73
	v_mul_f32_e32 v153, 0xbf2c7751, v69
	v_add_f32_e32 v10, v15, v10
	v_fma_f32 v15, 0x3f3d2fb0, v58, -v148
	v_mul_f32_e32 v150, 0xbeb8f4ab, v77
	v_add_f32_e32 v14, v137, v14
	v_fmamk_f32 v138, v54, 0xbf1a4643, v151
	v_fma_f32 v139, 0x3f3d2fb0, v55, -v153
	v_mul_f32_e32 v137, 0xbf7ee86f, v68
	v_add_f32_e32 v10, v15, v10
	v_fma_f32 v15, 0x3f6eb680, v59, -v150
	v_mul_f32_e32 v152, 0xbf7ee86f, v72
	v_mul_f32_e32 v154, 0xbe3c28d5, v70
	v_add_f32_e32 v14, v138, v14
	v_add_f32_e32 v139, v0, v139
	v_fma_f32 v141, 0x3dbcf732, v53, -v137
	v_mul_f32_e32 v138, 0xbf4c4adb, v67
	v_add_f32_e32 v10, v15, v10
	v_fma_f32 v15, 0x3dbcf732, v62, -v152
	v_mul_f32_e32 v155, 0xbf06c442, v74
	v_fmamk_f32 v140, v52, 0xbf7ba420, v154
	v_mul_f32_e32 v156, 0x3f06c442, v80
	v_add_f32_e32 v141, v141, v139
	v_fma_f32 v142, 0xbf1a4643, v51, -v138
	v_mul_f32_e32 v139, 0xbe3c28d5, v66
	v_add_f32_e32 v10, v15, v10
	v_fmamk_f32 v15, v65, 0xbf59a7d5, v155
	v_mul_f32_e32 v157, 0xbf06c442, v71
	v_add_f32_e32 v14, v140, v14
	v_fmamk_f32 v158, v60, 0xbf59a7d5, v156
	v_add_f32_e32 v141, v142, v141
	v_fma_f32 v142, 0xbf7ba420, v50, -v139
	v_mul_f32_e32 v140, 0x3f06c442, v78
	v_mul_f32_e32 v159, 0x3f763a35, v81
	v_add_f32_e32 v11, v15, v11
	v_fma_f32 v15, 0xbf59a7d5, v63, -v157
	v_add_f32_e32 v14, v158, v14
	v_add_f32_e32 v142, v142, v141
	v_fma_f32 v158, 0xbf59a7d5, v58, -v140
	v_mul_f32_e32 v141, 0x3f763a35, v77
	v_fmamk_f32 v160, v61, 0xbe8c1d8e, v159
	v_mul_f32_e32 v161, 0x3f65296c, v79
	v_add_f32_e32 v10, v15, v10
	v_add_f32_e32 v15, v158, v142
	v_fma_f32 v158, 0xbe8c1d8e, v59, -v141
	v_mul_f32_e32 v76, 0xbeb8f4ab, v76
	v_add_f32_e32 v14, v160, v14
	v_mul_f32_e32 v142, 0x3f65296c, v72
	v_fmamk_f32 v160, v64, 0x3ee437d1, v161
	v_add_f32_e32 v15, v158, v15
	v_mul_f32_e32 v158, 0x3eb8f4ab, v74
	v_fmamk_f32 v163, v57, 0x3f6eb680, v76
	v_mul_f32_e32 v75, 0xbf2c7751, v75
	v_fma_f32 v162, 0x3ee437d1, v62, -v142
	v_add_f32_e32 v14, v160, v14
	v_fmamk_f32 v160, v65, 0x3f6eb680, v158
	v_add_f32_e32 v163, v1, v163
	v_fmamk_f32 v164, v56, 0x3f3d2fb0, v75
	v_mul_f32_e32 v73, 0xbf65296c, v73
	v_add_f32_e32 v162, v162, v15
	v_add_f32_e32 v15, v160, v14
	v_mul_f32_e32 v69, 0xbeb8f4ab, v69
	v_add_f32_e32 v14, v164, v163
	v_fmamk_f32 v163, v54, 0x3ee437d1, v73
	v_mul_f32_e32 v70, 0xbf7ee86f, v70
	v_mul_f32_e32 v68, 0xbf2c7751, v68
	v_fma_f32 v165, 0x3f6eb680, v55, -v69
	v_mul_f32_e32 v80, 0xbf763a35, v80
	v_add_f32_e32 v14, v163, v14
	v_fmamk_f32 v163, v52, 0x3dbcf732, v70
	v_mul_f32_e32 v160, 0x3eb8f4ab, v71
	v_add_f32_e32 v165, v0, v165
	v_fma_f32 v166, 0x3f3d2fb0, v53, -v68
	v_mul_f32_e32 v167, 0xbf65296c, v67
	v_add_f32_e32 v14, v163, v14
	v_fmamk_f32 v67, v60, 0xbe8c1d8e, v80
	v_mul_f32_e32 v81, 0xbf4c4adb, v81
	v_fma_f32 v164, 0x3f6eb680, v63, -v160
	v_add_f32_e32 v163, v166, v165
	v_fma_f32 v165, 0x3ee437d1, v51, -v167
	v_mul_f32_e32 v166, 0xbf7ee86f, v66
	v_add_f32_e32 v66, v67, v14
	v_fmamk_f32 v67, v61, 0xbf1a4643, v81
	v_add_f32_e32 v14, v164, v162
	v_add_f32_e32 v162, v165, v163
	v_fma_f32 v163, 0x3dbcf732, v50, -v166
	v_mul_f32_e32 v78, 0xbf763a35, v78
	v_add_f32_e32 v66, v67, v66
	v_fma_f32 v67, 0xbf7ba420, v57, -v93
	v_mul_f32_e32 v77, 0xbf4c4adb, v77
	v_add_f32_e32 v93, v163, v162
	v_fma_f32 v162, 0xbe8c1d8e, v58, -v78
	v_fma_f32 v88, 0x3f6eb680, v56, -v88
	v_add_f32_e32 v67, v1, v67
	v_fmac_f32_e32 v90, 0xbf7ba420, v55
	v_fma_f32 v86, 0xbf59a7d5, v54, -v86
	v_add_f32_e32 v93, v162, v93
	v_fma_f32 v162, 0xbf1a4643, v59, -v77
	v_add_f32_e32 v67, v88, v67
	v_mul_f32_e32 v72, 0xbf06c442, v72
	v_add_f32_e32 v88, v0, v90
	v_fmac_f32_e32 v92, 0x3f6eb680, v53
	v_mul_f32_e32 v79, 0xbf06c442, v79
	v_add_f32_e32 v90, v162, v93
	v_add_f32_e32 v67, v86, v67
	v_fma_f32 v85, 0x3f3d2fb0, v52, -v85
	v_fma_f32 v86, 0xbf59a7d5, v62, -v72
	v_add_f32_e32 v88, v92, v88
	v_fmac_f32_e32 v91, 0xbf59a7d5, v51
	v_fmamk_f32 v163, v64, 0xbf59a7d5, v79
	v_add_f32_e32 v67, v85, v67
	v_fma_f32 v84, 0xbf1a4643, v60, -v84
	v_add_f32_e32 v85, v86, v90
	v_add_f32_e32 v86, v91, v88
	v_mul_f32_e32 v74, 0xbe3c28d5, v74
	v_fmac_f32_e32 v89, 0x3f3d2fb0, v50
	v_mul_f32_e32 v71, 0xbe3c28d5, v71
	v_add_f32_e32 v66, v163, v66
	v_add_f32_e32 v67, v84, v67
	v_fma_f32 v82, 0x3ee437d1, v61, -v82
	v_fmamk_f32 v84, v65, 0xbf7ba420, v74
	v_add_f32_e32 v86, v89, v86
	v_fmac_f32_e32 v94, 0xbf1a4643, v58
	v_fma_f32 v88, 0xbf7ba420, v63, -v71
	v_add_f32_e32 v82, v82, v67
	v_add_f32_e32 v67, v84, v66
	v_fma_f32 v83, 0xbe8c1d8e, v64, -v83
	v_add_f32_e32 v84, v94, v86
	v_fmac_f32_e32 v87, 0x3ee437d1, v59
	v_add_f32_e32 v66, v88, v85
	v_fma_f32 v85, 0xbf59a7d5, v57, -v114
	v_fmac_f32_e32 v115, 0xbf59a7d5, v55
	v_add_f32_e32 v82, v83, v82
	v_add_f32_e32 v83, v87, v84
	v_fmac_f32_e32 v26, 0xbe8c1d8e, v62
	v_add_f32_e32 v84, v1, v85
	v_fma_f32 v85, 0x3ee437d1, v56, -v110
	v_add_f32_e32 v86, v0, v115
	v_fmac_f32_e32 v116, 0x3ee437d1, v53
	v_add_f32_e32 v83, v26, v83
	v_fma_f32 v24, 0x3dbcf732, v65, -v24
	v_add_f32_e32 v84, v85, v84
	v_fma_f32 v85, 0x3dbcf732, v54, -v112
	v_add_f32_e32 v86, v116, v86
	v_fmac_f32_e32 v117, 0x3dbcf732, v51
	v_fmac_f32_e32 v25, 0x3dbcf732, v63
	v_add_f32_e32 v26, v24, v82
	v_add_f32_e32 v24, v85, v84
	v_fma_f32 v82, 0xbf1a4643, v52, -v113
	v_add_f32_e32 v84, v117, v86
	v_fmac_f32_e32 v29, 0xbf1a4643, v50
	v_add_f32_e32 v25, v25, v83
	v_fma_f32 v83, 0xbe8c1d8e, v57, -v107
	v_add_f32_e32 v24, v82, v24
	v_fma_f32 v27, 0x3f6eb680, v60, -v27
	v_add_f32_e32 v29, v29, v84
	v_fmac_f32_e32 v30, 0x3f6eb680, v58
	v_add_f32_e32 v82, v1, v83
	v_fma_f32 v83, 0xbf59a7d5, v56, -v108
	;; [unrolled: 6-line block ×4, first 2 shown]
	v_fmac_f32_e32 v101, 0xbe8c1d8e, v55
	v_add_f32_e32 v24, v27, v24
	v_add_f32_e32 v27, v32, v28
	v_fma_f32 v28, 0xbe8c1d8e, v65, -v34
	v_add_f32_e32 v29, v30, v29
	v_fma_f32 v30, 0xbf7ba420, v60, -v104
	v_add_f32_e32 v31, v0, v101
	v_fmac_f32_e32 v99, 0xbf59a7d5, v53
	v_add_f32_e32 v28, v28, v24
	v_fmac_f32_e32 v97, 0x3f3d2fb0, v51
	v_add_f32_e32 v24, v30, v29
	v_fma_f32 v29, 0x3dbcf732, v61, -v105
	v_add_f32_e32 v30, v99, v31
	v_fma_f32 v31, 0x3dbcf732, v57, -v118
	v_fmac_f32_e32 v19, 0x3ee437d1, v50
	v_fma_f32 v32, 0xbf7ba420, v56, -v119
	v_add_f32_e32 v24, v29, v24
	v_fma_f32 v29, 0x3f6eb680, v64, -v98
	v_add_f32_e32 v30, v97, v30
	v_add_f32_e32 v31, v1, v31
	v_fmac_f32_e32 v130, 0x3dbcf732, v55
	v_fmac_f32_e32 v18, 0xbf7ba420, v58
	v_add_f32_e32 v24, v29, v24
	v_add_f32_e32 v19, v19, v30
	;; [unrolled: 1-line block ×3, first 2 shown]
	v_fma_f32 v30, 0xbe8c1d8e, v54, -v100
	v_add_f32_e32 v31, v0, v130
	v_fmac_f32_e32 v131, 0xbf7ba420, v53
	v_add_f32_e32 v18, v18, v19
	v_fmac_f32_e32 v17, 0x3dbcf732, v59
	v_add_f32_e32 v19, v30, v29
	v_fma_f32 v29, 0x3f6eb680, v52, -v123
	v_add_f32_e32 v30, v131, v31
	v_fmac_f32_e32 v132, 0xbe8c1d8e, v51
	v_add_f32_e32 v17, v17, v18
	v_fmac_f32_e32 v127, 0x3f6eb680, v50
	v_add_f32_e32 v18, v29, v19
	v_fma_f32 v19, 0x3ee437d1, v60, -v134
	v_add_f32_e32 v29, v132, v30
	v_fmac_f32_e32 v96, 0x3f6eb680, v62
	v_fma_f32 v16, 0xbf1a4643, v65, -v16
	v_fmac_f32_e32 v128, 0x3ee437d1, v58
	v_add_f32_e32 v18, v19, v18
	v_fma_f32 v19, 0xbf59a7d5, v61, -v135
	v_add_f32_e32 v29, v127, v29
	v_add_f32_e32 v30, v96, v17
	;; [unrolled: 1-line block ×3, first 2 shown]
	v_fmac_f32_e32 v95, 0xbf1a4643, v63
	v_add_f32_e32 v18, v19, v18
	v_fma_f32 v19, 0xbf1a4643, v64, -v136
	v_add_f32_e32 v24, v128, v29
	v_fmac_f32_e32 v122, 0xbf59a7d5, v59
	v_fma_f32 v29, 0x3ee437d1, v57, -v143
	v_add_f32_e32 v16, v95, v30
	v_add_f32_e32 v18, v19, v18
	v_fma_f32 v19, 0x3f3d2fb0, v65, -v145
	v_add_f32_e32 v24, v122, v24
	v_fmac_f32_e32 v106, 0xbf1a4643, v62
	v_add_f32_e32 v29, v1, v29
	v_fma_f32 v30, 0xbf1a4643, v56, -v144
	v_fmac_f32_e32 v146, 0x3ee437d1, v55
	v_add_f32_e32 v19, v19, v18
	v_add_f32_e32 v18, v106, v24
	v_fmac_f32_e32 v126, 0xbf1a4643, v53
	v_add_f32_e32 v24, v30, v29
	v_fma_f32 v29, 0xbf7ba420, v54, -v125
	v_add_f32_e32 v30, v0, v146
	v_fmac_f32_e32 v129, 0xbf7ba420, v51
	v_fma_f32 v31, 0x3f3d2fb0, v57, -v147
	v_fmac_f32_e32 v133, 0xbe8c1d8e, v50
	v_add_f32_e32 v24, v29, v24
	v_fma_f32 v29, 0xbe8c1d8e, v52, -v102
	v_add_f32_e32 v30, v126, v30
	v_add_f32_e32 v31, v1, v31
	v_fma_f32 v32, 0x3dbcf732, v56, -v149
	v_fmac_f32_e32 v148, 0x3f3d2fb0, v58
	v_add_f32_e32 v24, v29, v24
	v_fma_f32 v29, 0x3f3d2fb0, v60, -v103
	v_add_f32_e32 v30, v129, v30
	v_add_f32_e32 v31, v32, v31
	;; [unrolled: 6-line block ×5, first 2 shown]
	v_fma_f32 v32, 0xbe8c1d8e, v61, -v159
	v_fmac_f32_e32 v153, 0x3f3d2fb0, v55
	v_add_f32_e32 v30, v29, v24
	v_add_f32_e32 v24, v152, v33
	v_fmac_f32_e32 v69, 0x3f6eb680, v55
	v_add_f32_e32 v31, v32, v31
	v_fma_f32 v32, 0x3ee437d1, v64, -v161
	v_add_f32_e32 v33, v0, v153
	v_add_f32_e32 v29, v157, v24
	v_fma_f32 v24, 0x3f6eb680, v57, -v76
	v_fmac_f32_e32 v137, 0x3dbcf732, v53
	v_add_f32_e32 v0, v0, v69
	v_fmac_f32_e32 v68, 0x3f3d2fb0, v53
	v_add_f32_e32 v31, v32, v31
	v_add_f32_e32 v1, v1, v24
	v_fma_f32 v24, 0x3f3d2fb0, v56, -v75
	v_add_f32_e32 v32, v137, v33
	v_fmac_f32_e32 v138, 0xbf1a4643, v51
	v_add_f32_e32 v0, v68, v0
	v_fmac_f32_e32 v167, 0x3ee437d1, v51
	v_add_f32_e32 v1, v24, v1
	v_fma_f32 v24, 0x3ee437d1, v54, -v73
	v_add_f32_e32 v32, v138, v32
	v_fmac_f32_e32 v139, 0xbf7ba420, v50
	v_add_f32_e32 v0, v167, v0
	v_fmac_f32_e32 v166, 0x3dbcf732, v50
	;; [unrolled: 6-line block ×4, first 2 shown]
	v_add_f32_e32 v1, v24, v1
	v_fma_f32 v24, 0xbf1a4643, v61, -v81
	v_fmac_f32_e32 v35, 0xbe8c1d8e, v63
	v_add_f32_e32 v32, v141, v32
	v_fmac_f32_e32 v142, 0x3ee437d1, v62
	v_add_f32_e32 v0, v77, v0
	v_add_f32_e32 v1, v24, v1
	v_fma_f32 v24, 0xbf59a7d5, v64, -v79
	v_fmac_f32_e32 v72, 0xbf59a7d5, v62
	v_mul_u32_u24_e32 v34, 0x88, v40
	v_add_f32_e32 v27, v35, v27
	v_fmac_f32_e32 v124, 0x3f3d2fb0, v63
	v_fma_f32 v33, 0x3f6eb680, v65, -v158
	v_add_f32_e32 v32, v142, v32
	v_fmac_f32_e32 v160, 0x3f6eb680, v63
	v_add_f32_e32 v24, v24, v1
	v_fma_f32 v35, 0xbf7ba420, v65, -v74
	v_add_f32_e32 v50, v72, v0
	v_fmac_f32_e32 v71, 0xbf7ba420, v63
	v_add3_u32 v34, 0, v34, v44
	v_add_f32_e32 v18, v124, v18
	v_add_f32_e32 v1, v33, v31
	;; [unrolled: 1-line block ×5, first 2 shown]
	ds_write2_b64 v34, v[4:5], v[66:67] offset1:1
	ds_write2_b64 v34, v[14:15], v[10:11] offset0:2 offset1:3
	ds_write2_b64 v34, v[8:9], v[6:7] offset0:4 offset1:5
	ds_write2_b64 v34, v[12:13], v[22:23] offset0:6 offset1:7
	ds_write2_b64 v34, v[20:21], v[25:26] offset0:8 offset1:9
	ds_write2_b64 v34, v[27:28], v[2:3] offset0:10 offset1:11
	ds_write2_b64 v34, v[16:17], v[18:19] offset0:12 offset1:13
	ds_write2_b64 v34, v[29:30], v[0:1] offset0:14 offset1:15
	ds_write_b64 v34, v[31:32] offset:128
.LBB0_23:
	s_or_b32 exec_lo, exec_lo, s1
	v_and_b32_e32 v0, 0xff, v40
	v_mov_b32_e32 v4, 10
	s_waitcnt lgkmcnt(0)
	s_barrier
	buffer_gl0_inv
	v_mul_lo_u16 v0, 0xf1, v0
	v_mov_b32_e32 v51, 3
	v_cmp_gt_u32_e64 s0, 0x55, v40
	v_lshrrev_b16 v0, 12, v0
	v_mul_lo_u16 v1, v0, 17
	v_sub_nc_u16 v50, v40, v1
	v_mul_u32_u24_sdwa v1, v50, v4 dst_sel:DWORD dst_unused:UNUSED_PAD src0_sel:BYTE_0 src1_sel:DWORD
	v_lshlrev_b32_sdwa v56, v51, v50 dst_sel:DWORD dst_unused:UNUSED_PAD src0_sel:DWORD src1_sel:BYTE_0
	v_lshlrev_b32_e32 v1, 3, v1
	s_clause 0x4
	global_load_dwordx4 v[4:7], v1, s[12:13]
	global_load_dwordx4 v[8:11], v1, s[12:13] offset:16
	global_load_dwordx4 v[12:15], v1, s[12:13] offset:32
	;; [unrolled: 1-line block ×4, first 2 shown]
	ds_read2_b64 v[24:27], v41 offset0:102 offset1:204
	ds_read2_b64 v[28:31], v49 offset0:50 offset1:152
	v_and_b32_e32 v49, 0xffff, v0
	ds_read2_b32 v[0:1], v48 offset0:252 offset1:253
	ds_read2_b64 v[32:35], v46 offset0:100 offset1:202
	v_mad_u32_u24 v55, 0x5d8, v49, 0
	ds_read2_b64 v[47:50], v47 offset0:48 offset1:150
	ds_read_b64 v[51:52], v43
	ds_read_b64 v[53:54], v41 offset:8160
	s_waitcnt vmcnt(0) lgkmcnt(0)
	s_barrier
	buffer_gl0_inv
	v_add3_u32 v44, v55, v56, v44
	v_mul_f32_e32 v55, v5, v25
	v_mul_f32_e32 v5, v5, v24
	;; [unrolled: 1-line block ×18, first 2 shown]
	v_fma_f32 v24, v4, v24, -v55
	v_fmac_f32_e32 v5, v4, v25
	v_mul_f32_e32 v62, v48, v19
	v_mul_f32_e32 v19, v47, v19
	v_fma_f32 v4, v6, v26, -v56
	v_fmac_f32_e32 v7, v6, v27
	v_fma_f32 v6, v8, v28, -v57
	v_fmac_f32_e32 v9, v8, v29
	;; [unrolled: 2-line block ×3, first 2 shown]
	v_fmac_f32_e32 v13, v1, v12
	v_fma_f32 v1, v32, v14, -v60
	v_fmac_f32_e32 v15, v33, v14
	v_fma_f32 v10, v34, v16, -v61
	;; [unrolled: 2-line block ×3, first 2 shown]
	v_fma_f32 v26, v53, v22, -v21
	v_fmac_f32_e32 v23, v54, v22
	v_fmac_f32_e32 v64, v50, v20
	v_add_f32_e32 v14, v24, v51
	v_add_f32_e32 v16, v5, v52
	v_fma_f32 v0, v12, v0, -v59
	v_fma_f32 v12, v47, v18, -v62
	v_fmac_f32_e32 v19, v48, v18
	v_add_f32_e32 v18, v24, v26
	v_add_f32_e32 v20, v5, v23
	v_sub_f32_e32 v21, v24, v26
	v_sub_f32_e32 v5, v5, v23
	v_add_f32_e32 v22, v4, v25
	v_add_f32_e32 v24, v7, v64
	v_sub_f32_e32 v27, v4, v25
	v_sub_f32_e32 v28, v7, v64
	v_add_f32_e32 v4, v14, v4
	v_add_f32_e32 v7, v16, v7
	;; [unrolled: 1-line block ×3, first 2 shown]
	v_sub_f32_e32 v31, v6, v12
	v_sub_f32_e32 v32, v9, v19
	;; [unrolled: 1-line block ×6, first 2 shown]
	v_mul_f32_e32 v14, 0xbf0a6770, v5
	v_mul_f32_e32 v16, 0xbf0a6770, v21
	;; [unrolled: 1-line block ×9, first 2 shown]
	v_add_f32_e32 v4, v4, v6
	v_add_f32_e32 v6, v7, v9
	v_mul_f32_e32 v21, 0xbe903f40, v21
	v_add_f32_e32 v30, v9, v19
	v_add_f32_e32 v33, v8, v10
	;; [unrolled: 1-line block ×5, first 2 shown]
	v_mul_f32_e32 v60, 0xbf68dda4, v28
	v_mul_f32_e32 v61, 0xbf68dda4, v27
	;; [unrolled: 1-line block ×40, first 2 shown]
	v_fma_f32 v7, 0x3f575c64, v18, -v14
	v_fmamk_f32 v9, v20, 0x3f575c64, v16
	v_fmac_f32_e32 v14, 0x3f575c64, v18
	v_fma_f32 v16, 0x3f575c64, v20, -v16
	v_fma_f32 v93, 0x3ed4b147, v18, -v54
	v_fmamk_f32 v94, v20, 0x3ed4b147, v55
	v_fmac_f32_e32 v54, 0x3ed4b147, v18
	v_fma_f32 v55, 0x3ed4b147, v20, -v55
	;; [unrolled: 4-line block ×3, first 2 shown]
	v_fmamk_f32 v98, v20, 0xbf27a4f4, v59
	v_fma_f32 v99, 0xbf75a155, v18, -v5
	v_fmac_f32_e32 v5, 0xbf75a155, v18
	v_add_f32_e32 v4, v4, v8
	v_add_f32_e32 v6, v6, v11
	v_fma_f32 v57, 0xbe11bafb, v20, -v57
	v_fmamk_f32 v100, v20, 0xbf75a155, v21
	v_fmac_f32_e32 v58, 0xbf27a4f4, v18
	v_fma_f32 v59, 0xbf27a4f4, v20, -v59
	v_fma_f32 v18, 0xbf75a155, v20, -v21
	;; [unrolled: 1-line block ×3, first 2 shown]
	v_fmamk_f32 v21, v24, 0x3ed4b147, v61
	v_fmac_f32_e32 v60, 0x3ed4b147, v22
	v_fma_f32 v61, 0x3ed4b147, v24, -v61
	v_fma_f32 v101, 0xbf27a4f4, v22, -v62
	v_fmamk_f32 v102, v24, 0xbf27a4f4, v63
	v_fmac_f32_e32 v62, 0xbf27a4f4, v22
	v_fma_f32 v63, 0xbf27a4f4, v24, -v63
	v_fma_f32 v103, 0xbf75a155, v22, -v65
	;; [unrolled: 4-line block ×19, first 2 shown]
	v_fmamk_f32 v132, v49, 0xbe11bafb, v50
	v_fmac_f32_e32 v53, 0xbe11bafb, v48
	v_fma_f32 v48, 0xbe11bafb, v49, -v50
	v_add_f32_e32 v7, v7, v51
	v_add_f32_e32 v8, v9, v52
	;; [unrolled: 1-line block ×110, first 2 shown]
	ds_write2_b64 v44, v[14:15], v[16:17] offset0:34 offset1:51
	v_add_f32_e32 v14, v22, v26
	v_add_f32_e32 v15, v24, v23
	ds_write2_b64 v44, v[18:19], v[20:21] offset0:68 offset1:85
	ds_write2_b64 v44, v[4:5], v[6:7] offset0:102 offset1:119
	;; [unrolled: 1-line block ×3, first 2 shown]
	ds_write_b64 v44, v[0:1] offset:1360
	ds_write2_b64 v44, v[14:15], v[12:13] offset1:17
	s_waitcnt lgkmcnt(0)
	s_barrier
	buffer_gl0_inv
	ds_read2_b64 v[16:19], v45 offset0:59 offset1:246
	ds_read2_b64 v[12:15], v46 offset0:49 offset1:236
	ds_read_b64 v[20:21], v43
	ds_read_b64 v[22:23], v41 offset:7480
	s_and_saveexec_b32 s1, s0
	s_cbranch_execz .LBB0_25
; %bb.24:
	v_add_nc_u32_e32 v0, 0x200, v41
	v_add_nc_u32_e32 v1, 0xe00, v41
	;; [unrolled: 1-line block ×3, first 2 shown]
	ds_read2_b64 v[4:7], v0 offset0:38 offset1:225
	ds_read2_b64 v[8:11], v1 offset0:28 offset1:215
	ds_read2_b64 v[0:3], v2 offset0:18 offset1:205
.LBB0_25:
	s_or_b32 exec_lo, exec_lo, s1
	v_mul_u32_u24_e32 v24, 5, v40
	v_add_nc_u32_e32 v34, 0xa00, v41
	v_add_nc_u32_e32 v35, 0x1600, v41
	v_lshlrev_b32_e32 v32, 3, v24
	s_clause 0x2
	global_load_dwordx4 v[24:27], v32, s[12:13] offset:1360
	global_load_dwordx4 v[28:31], v32, s[12:13] offset:1376
	global_load_dwordx2 v[32:33], v32, s[12:13] offset:1392
	s_waitcnt vmcnt(0) lgkmcnt(0)
	s_barrier
	buffer_gl0_inv
	v_mul_f32_e32 v43, v25, v17
	v_mul_f32_e32 v25, v25, v16
	;; [unrolled: 1-line block ×10, first 2 shown]
	v_fmac_f32_e32 v25, v24, v17
	v_fma_f32 v17, v26, v18, -v44
	v_fmac_f32_e32 v27, v26, v19
	v_fma_f32 v12, v28, v12, -v45
	;; [unrolled: 2-line block ×5, first 2 shown]
	v_add_f32_e32 v18, v17, v13
	v_sub_f32_e32 v19, v27, v31
	v_add_f32_e32 v22, v21, v27
	v_add_f32_e32 v23, v27, v31
	;; [unrolled: 1-line block ×3, first 2 shown]
	v_sub_f32_e32 v27, v29, v33
	v_add_f32_e32 v28, v25, v29
	v_add_f32_e32 v29, v29, v33
	;; [unrolled: 1-line block ×3, first 2 shown]
	v_sub_f32_e32 v17, v17, v13
	v_add_f32_e32 v24, v16, v12
	v_sub_f32_e32 v12, v12, v14
	v_fma_f32 v20, -0.5, v18, v20
	v_fmac_f32_e32 v21, -0.5, v23
	v_fmac_f32_e32 v16, -0.5, v26
	;; [unrolled: 1-line block ×3, first 2 shown]
	v_add_f32_e32 v14, v24, v14
	v_fmamk_f32 v23, v19, 0x3f5db3d7, v20
	v_fmac_f32_e32 v20, 0xbf5db3d7, v19
	v_fmamk_f32 v24, v17, 0xbf5db3d7, v21
	v_fmac_f32_e32 v21, 0x3f5db3d7, v17
	v_fmamk_f32 v17, v27, 0x3f5db3d7, v16
	v_fmamk_f32 v19, v12, 0xbf5db3d7, v25
	v_fmac_f32_e32 v16, 0xbf5db3d7, v27
	v_fmac_f32_e32 v25, 0x3f5db3d7, v12
	v_add_f32_e32 v18, v22, v31
	v_add_f32_e32 v22, v28, v33
	v_mul_f32_e32 v26, 0x3f5db3d7, v19
	v_mul_f32_e32 v28, 0xbf5db3d7, v17
	v_mul_f32_e32 v27, -0.5, v16
	v_mul_f32_e32 v29, -0.5, v25
	v_add_f32_e32 v15, v15, v13
	v_fmac_f32_e32 v26, 0.5, v17
	v_fmac_f32_e32 v28, 0.5, v19
	v_fmac_f32_e32 v27, 0x3f5db3d7, v25
	v_fmac_f32_e32 v29, 0xbf5db3d7, v16
	v_add_f32_e32 v12, v15, v14
	v_add_f32_e32 v13, v18, v22
	;; [unrolled: 1-line block ×4, first 2 shown]
	v_sub_f32_e32 v14, v15, v14
	v_sub_f32_e32 v15, v18, v22
	v_add_f32_e32 v18, v20, v27
	v_add_f32_e32 v19, v21, v29
	v_sub_f32_e32 v22, v23, v26
	v_sub_f32_e32 v20, v20, v27
	;; [unrolled: 1-line block ×4, first 2 shown]
	ds_write2_b64 v41, v[12:13], v[16:17] offset1:187
	ds_write2_b64 v34, v[18:19], v[14:15] offset0:54 offset1:241
	ds_write2_b64 v35, v[22:23], v[20:21] offset0:44 offset1:231
	s_and_saveexec_b32 s1, s0
	s_cbranch_execz .LBB0_27
; %bb.26:
	v_add_nc_u32_e32 v12, 0x66, v40
	v_add_nc_u32_e32 v13, 0xffffffab, v40
	;; [unrolled: 1-line block ×5, first 2 shown]
	v_cndmask_b32_e64 v12, v13, v12, s0
	v_mov_b32_e32 v13, 0
	v_mul_i32_i24_e32 v12, 5, v12
	v_lshlrev_b64 v[12:13], 3, v[12:13]
	v_add_co_u32 v20, s0, s12, v12
	v_add_co_ci_u32_e64 v21, s0, s13, v13, s0
	s_clause 0x2
	global_load_dwordx4 v[12:15], v[20:21], off offset:1360
	global_load_dwordx4 v[16:19], v[20:21], off offset:1376
	global_load_dwordx2 v[20:21], v[20:21], off offset:1392
	s_waitcnt vmcnt(2)
	v_mul_f32_e32 v25, v9, v15
	s_waitcnt vmcnt(1)
	v_mul_f32_e32 v26, v1, v19
	v_mul_f32_e32 v15, v8, v15
	;; [unrolled: 1-line block ×5, first 2 shown]
	s_waitcnt vmcnt(0)
	v_mul_f32_e32 v29, v3, v21
	v_mul_f32_e32 v17, v10, v17
	;; [unrolled: 1-line block ×4, first 2 shown]
	v_fmac_f32_e32 v15, v9, v14
	v_fmac_f32_e32 v19, v1, v18
	v_fma_f32 v1, v6, v12, -v27
	v_fma_f32 v6, v10, v16, -v28
	;; [unrolled: 1-line block ×3, first 2 shown]
	v_fmac_f32_e32 v17, v11, v16
	v_fmac_f32_e32 v21, v3, v20
	v_fma_f32 v8, v8, v14, -v25
	v_fma_f32 v0, v0, v18, -v26
	v_fmac_f32_e32 v13, v7, v12
	v_add_f32_e32 v7, v15, v19
	v_add_f32_e32 v9, v6, v2
	;; [unrolled: 1-line block ×3, first 2 shown]
	v_sub_f32_e32 v3, v8, v0
	v_sub_f32_e32 v10, v17, v21
	;; [unrolled: 1-line block ×3, first 2 shown]
	v_add_f32_e32 v14, v5, v15
	v_add_f32_e32 v16, v13, v17
	;; [unrolled: 1-line block ×4, first 2 shown]
	v_fma_f32 v18, -0.5, v7, v5
	v_fma_f32 v5, -0.5, v9, v1
	;; [unrolled: 1-line block ×3, first 2 shown]
	v_add_f32_e32 v6, v1, v6
	v_add_f32_e32 v9, v14, v19
	;; [unrolled: 1-line block ×3, first 2 shown]
	v_fma_f32 v13, -0.5, v17, v4
	v_add_f32_e32 v4, v8, v0
	v_fmamk_f32 v8, v10, 0xbf5db3d7, v5
	v_fmamk_f32 v14, v11, 0x3f5db3d7, v7
	v_fmac_f32_e32 v7, 0xbf5db3d7, v11
	v_fmac_f32_e32 v5, 0x3f5db3d7, v10
	v_sub_f32_e32 v15, v15, v19
	v_add_f32_e32 v2, v6, v2
	v_fmamk_f32 v6, v3, 0x3f5db3d7, v18
	v_fmac_f32_e32 v18, 0xbf5db3d7, v3
	v_sub_f32_e32 v1, v9, v12
	v_mul_f32_e32 v10, -0.5, v14
	v_mul_f32_e32 v11, 0xbf5db3d7, v5
	v_add_f32_e32 v3, v9, v12
	v_mul_f32_e32 v12, 0x3f5db3d7, v7
	v_fmamk_f32 v16, v15, 0xbf5db3d7, v13
	v_fmac_f32_e32 v13, 0x3f5db3d7, v15
	v_mul_f32_e32 v15, -0.5, v8
	v_fmac_f32_e32 v10, 0xbf5db3d7, v8
	v_fmac_f32_e32 v11, 0.5, v7
	v_fmac_f32_e32 v12, 0.5, v5
	v_sub_f32_e32 v0, v4, v2
	v_fmac_f32_e32 v15, 0x3f5db3d7, v14
	v_add_f32_e32 v2, v4, v2
	v_sub_f32_e32 v5, v6, v10
	v_sub_f32_e32 v7, v18, v11
	v_add_f32_e32 v9, v6, v10
	v_add_f32_e32 v11, v18, v11
	;; [unrolled: 1-line block ×4, first 2 shown]
	v_sub_f32_e32 v4, v16, v15
	v_sub_f32_e32 v6, v13, v12
	ds_write2_b64 v22, v[2:3], v[10:11] offset0:38 offset1:225
	ds_write2_b64 v23, v[8:9], v[0:1] offset0:28 offset1:215
	;; [unrolled: 1-line block ×3, first 2 shown]
.LBB0_27:
	s_or_b32 exec_lo, exec_lo, s1
	s_waitcnt lgkmcnt(0)
	s_barrier
	buffer_gl0_inv
	s_and_saveexec_b32 s0, vcc_lo
	s_cbranch_execz .LBB0_29
; %bb.28:
	v_mul_lo_u32 v2, s3, v38
	v_mul_lo_u32 v3, s2, v39
	v_mad_u64_u32 v[0:1], null, s2, v38, 0
	v_lshl_add_u32 v16, v40, 3, v42
	v_mov_b32_e32 v41, 0
	v_lshlrev_b64 v[4:5], 3, v[36:37]
	v_add_nc_u32_e32 v8, 0x66, v40
	v_add_nc_u32_e32 v10, 0xcc, v40
	;; [unrolled: 1-line block ×3, first 2 shown]
	v_add3_u32 v1, v1, v3, v2
	v_lshlrev_b64 v[12:13], 3, v[40:41]
	v_mov_b32_e32 v9, v41
	v_mov_b32_e32 v11, v41
	;; [unrolled: 1-line block ×3, first 2 shown]
	v_lshlrev_b64 v[6:7], 3, v[0:1]
	ds_read2_b64 v[0:3], v16 offset1:102
	v_lshlrev_b64 v[8:9], 3, v[8:9]
	v_lshlrev_b64 v[10:11], 3, v[10:11]
	v_add_co_u32 v6, vcc_lo, s10, v6
	v_add_co_ci_u32_e32 v7, vcc_lo, s11, v7, vcc_lo
	v_add_co_u32 v20, vcc_lo, v6, v4
	v_add_co_ci_u32_e32 v21, vcc_lo, v7, v5, vcc_lo
	ds_read2_b64 v[4:7], v14 offset0:76 offset1:178
	v_add_co_u32 v12, vcc_lo, v20, v12
	v_add_co_ci_u32_e32 v13, vcc_lo, v21, v13, vcc_lo
	v_add_nc_u32_e32 v14, 0x800, v16
	s_waitcnt lgkmcnt(1)
	global_store_dwordx2 v[12:13], v[0:1], off
	v_add_co_u32 v0, vcc_lo, v20, v8
	v_add_co_ci_u32_e32 v1, vcc_lo, v21, v9, vcc_lo
	v_add_co_u32 v8, vcc_lo, v20, v10
	v_add_co_ci_u32_e32 v9, vcc_lo, v21, v11, vcc_lo
	v_add_nc_u32_e32 v10, 0x132, v40
	v_mov_b32_e32 v11, v41
	global_store_dwordx2 v[0:1], v[2:3], off
	s_waitcnt lgkmcnt(0)
	global_store_dwordx2 v[8:9], v[4:5], off
	v_add_nc_u32_e32 v12, 0x198, v40
	v_mov_b32_e32 v13, v41
	ds_read2_b64 v[0:3], v14 offset0:152 offset1:254
	v_lshlrev_b64 v[4:5], 3, v[10:11]
	v_add_nc_u32_e32 v10, 0x1fe, v40
	v_add_nc_u32_e32 v14, 0x1000, v16
	v_lshlrev_b64 v[8:9], 3, v[12:13]
	v_add_nc_u32_e32 v12, 0x264, v40
	v_add_co_u32 v4, vcc_lo, v20, v4
	v_lshlrev_b64 v[10:11], 3, v[10:11]
	v_add_co_ci_u32_e32 v5, vcc_lo, v21, v5, vcc_lo
	v_add_co_u32 v8, vcc_lo, v20, v8
	v_add_co_ci_u32_e32 v9, vcc_lo, v21, v9, vcc_lo
	v_add_co_u32 v10, vcc_lo, v20, v10
	v_add_co_ci_u32_e32 v11, vcc_lo, v21, v11, vcc_lo
	global_store_dwordx2 v[4:5], v[6:7], off
	s_waitcnt lgkmcnt(0)
	global_store_dwordx2 v[8:9], v[0:1], off
	global_store_dwordx2 v[10:11], v[2:3], off
	v_lshlrev_b64 v[4:5], 3, v[12:13]
	ds_read2_b64 v[0:3], v14 offset0:100 offset1:202
	v_add_nc_u32_e32 v6, 0x2ca, v40
	v_mov_b32_e32 v7, v41
	v_add_nc_u32_e32 v14, 0x1800, v16
	v_add_nc_u32_e32 v8, 0x330, v40
	v_mov_b32_e32 v9, v41
	v_add_co_u32 v10, vcc_lo, v20, v4
	v_add_co_ci_u32_e32 v11, vcc_lo, v21, v5, vcc_lo
	v_lshlrev_b64 v[12:13], 3, v[6:7]
	ds_read2_b64 v[4:7], v14 offset0:48 offset1:150
	v_add_nc_u32_e32 v14, 0x396, v40
	ds_read_b64 v[16:17], v16 offset:8160
	v_lshlrev_b64 v[8:9], 3, v[8:9]
	v_add_nc_u32_e32 v40, 0x3fc, v40
	v_add_co_u32 v12, vcc_lo, v20, v12
	v_lshlrev_b64 v[14:15], 3, v[14:15]
	v_add_co_ci_u32_e32 v13, vcc_lo, v21, v13, vcc_lo
	v_add_co_u32 v8, vcc_lo, v20, v8
	v_lshlrev_b64 v[18:19], 3, v[40:41]
	v_add_co_ci_u32_e32 v9, vcc_lo, v21, v9, vcc_lo
	v_add_co_u32 v14, vcc_lo, v20, v14
	v_add_co_ci_u32_e32 v15, vcc_lo, v21, v15, vcc_lo
	v_add_co_u32 v18, vcc_lo, v20, v18
	v_add_co_ci_u32_e32 v19, vcc_lo, v21, v19, vcc_lo
	s_waitcnt lgkmcnt(2)
	global_store_dwordx2 v[10:11], v[0:1], off
	global_store_dwordx2 v[12:13], v[2:3], off
	s_waitcnt lgkmcnt(1)
	global_store_dwordx2 v[8:9], v[4:5], off
	global_store_dwordx2 v[14:15], v[6:7], off
	s_waitcnt lgkmcnt(0)
	global_store_dwordx2 v[18:19], v[16:17], off
.LBB0_29:
	s_endpgm
	.section	.rodata,"a",@progbits
	.p2align	6, 0x0
	.amdhsa_kernel fft_rtc_fwd_len1122_factors_17_11_6_wgs_204_tpt_102_halfLds_sp_op_CI_CI_unitstride_sbrr_C2R_dirReg
		.amdhsa_group_segment_fixed_size 0
		.amdhsa_private_segment_fixed_size 0
		.amdhsa_kernarg_size 104
		.amdhsa_user_sgpr_count 6
		.amdhsa_user_sgpr_private_segment_buffer 1
		.amdhsa_user_sgpr_dispatch_ptr 0
		.amdhsa_user_sgpr_queue_ptr 0
		.amdhsa_user_sgpr_kernarg_segment_ptr 1
		.amdhsa_user_sgpr_dispatch_id 0
		.amdhsa_user_sgpr_flat_scratch_init 0
		.amdhsa_user_sgpr_private_segment_size 0
		.amdhsa_wavefront_size32 1
		.amdhsa_uses_dynamic_stack 0
		.amdhsa_system_sgpr_private_segment_wavefront_offset 0
		.amdhsa_system_sgpr_workgroup_id_x 1
		.amdhsa_system_sgpr_workgroup_id_y 0
		.amdhsa_system_sgpr_workgroup_id_z 0
		.amdhsa_system_sgpr_workgroup_info 0
		.amdhsa_system_vgpr_workitem_id 0
		.amdhsa_next_free_vgpr 168
		.amdhsa_next_free_sgpr 27
		.amdhsa_reserve_vcc 1
		.amdhsa_reserve_flat_scratch 0
		.amdhsa_float_round_mode_32 0
		.amdhsa_float_round_mode_16_64 0
		.amdhsa_float_denorm_mode_32 3
		.amdhsa_float_denorm_mode_16_64 3
		.amdhsa_dx10_clamp 1
		.amdhsa_ieee_mode 1
		.amdhsa_fp16_overflow 0
		.amdhsa_workgroup_processor_mode 1
		.amdhsa_memory_ordered 1
		.amdhsa_forward_progress 0
		.amdhsa_shared_vgpr_count 0
		.amdhsa_exception_fp_ieee_invalid_op 0
		.amdhsa_exception_fp_denorm_src 0
		.amdhsa_exception_fp_ieee_div_zero 0
		.amdhsa_exception_fp_ieee_overflow 0
		.amdhsa_exception_fp_ieee_underflow 0
		.amdhsa_exception_fp_ieee_inexact 0
		.amdhsa_exception_int_div_zero 0
	.end_amdhsa_kernel
	.text
.Lfunc_end0:
	.size	fft_rtc_fwd_len1122_factors_17_11_6_wgs_204_tpt_102_halfLds_sp_op_CI_CI_unitstride_sbrr_C2R_dirReg, .Lfunc_end0-fft_rtc_fwd_len1122_factors_17_11_6_wgs_204_tpt_102_halfLds_sp_op_CI_CI_unitstride_sbrr_C2R_dirReg
                                        ; -- End function
	.section	.AMDGPU.csdata,"",@progbits
; Kernel info:
; codeLenInByte = 11980
; NumSgprs: 29
; NumVgprs: 168
; ScratchSize: 0
; MemoryBound: 0
; FloatMode: 240
; IeeeMode: 1
; LDSByteSize: 0 bytes/workgroup (compile time only)
; SGPRBlocks: 3
; VGPRBlocks: 20
; NumSGPRsForWavesPerEU: 29
; NumVGPRsForWavesPerEU: 168
; Occupancy: 5
; WaveLimiterHint : 1
; COMPUTE_PGM_RSRC2:SCRATCH_EN: 0
; COMPUTE_PGM_RSRC2:USER_SGPR: 6
; COMPUTE_PGM_RSRC2:TRAP_HANDLER: 0
; COMPUTE_PGM_RSRC2:TGID_X_EN: 1
; COMPUTE_PGM_RSRC2:TGID_Y_EN: 0
; COMPUTE_PGM_RSRC2:TGID_Z_EN: 0
; COMPUTE_PGM_RSRC2:TIDIG_COMP_CNT: 0
	.text
	.p2alignl 6, 3214868480
	.fill 48, 4, 3214868480
	.type	__hip_cuid_425ed5eb34276baa,@object ; @__hip_cuid_425ed5eb34276baa
	.section	.bss,"aw",@nobits
	.globl	__hip_cuid_425ed5eb34276baa
__hip_cuid_425ed5eb34276baa:
	.byte	0                               ; 0x0
	.size	__hip_cuid_425ed5eb34276baa, 1

	.ident	"AMD clang version 19.0.0git (https://github.com/RadeonOpenCompute/llvm-project roc-6.4.0 25133 c7fe45cf4b819c5991fe208aaa96edf142730f1d)"
	.section	".note.GNU-stack","",@progbits
	.addrsig
	.addrsig_sym __hip_cuid_425ed5eb34276baa
	.amdgpu_metadata
---
amdhsa.kernels:
  - .args:
      - .actual_access:  read_only
        .address_space:  global
        .offset:         0
        .size:           8
        .value_kind:     global_buffer
      - .offset:         8
        .size:           8
        .value_kind:     by_value
      - .actual_access:  read_only
        .address_space:  global
        .offset:         16
        .size:           8
        .value_kind:     global_buffer
      - .actual_access:  read_only
        .address_space:  global
        .offset:         24
        .size:           8
        .value_kind:     global_buffer
      - .actual_access:  read_only
        .address_space:  global
        .offset:         32
        .size:           8
        .value_kind:     global_buffer
      - .offset:         40
        .size:           8
        .value_kind:     by_value
      - .actual_access:  read_only
        .address_space:  global
        .offset:         48
        .size:           8
        .value_kind:     global_buffer
      - .actual_access:  read_only
        .address_space:  global
        .offset:         56
        .size:           8
        .value_kind:     global_buffer
      - .offset:         64
        .size:           4
        .value_kind:     by_value
      - .actual_access:  read_only
        .address_space:  global
        .offset:         72
        .size:           8
        .value_kind:     global_buffer
      - .actual_access:  read_only
        .address_space:  global
        .offset:         80
        .size:           8
        .value_kind:     global_buffer
      - .actual_access:  read_only
        .address_space:  global
        .offset:         88
        .size:           8
        .value_kind:     global_buffer
      - .actual_access:  write_only
        .address_space:  global
        .offset:         96
        .size:           8
        .value_kind:     global_buffer
    .group_segment_fixed_size: 0
    .kernarg_segment_align: 8
    .kernarg_segment_size: 104
    .language:       OpenCL C
    .language_version:
      - 2
      - 0
    .max_flat_workgroup_size: 204
    .name:           fft_rtc_fwd_len1122_factors_17_11_6_wgs_204_tpt_102_halfLds_sp_op_CI_CI_unitstride_sbrr_C2R_dirReg
    .private_segment_fixed_size: 0
    .sgpr_count:     29
    .sgpr_spill_count: 0
    .symbol:         fft_rtc_fwd_len1122_factors_17_11_6_wgs_204_tpt_102_halfLds_sp_op_CI_CI_unitstride_sbrr_C2R_dirReg.kd
    .uniform_work_group_size: 1
    .uses_dynamic_stack: false
    .vgpr_count:     168
    .vgpr_spill_count: 0
    .wavefront_size: 32
    .workgroup_processor_mode: 1
amdhsa.target:   amdgcn-amd-amdhsa--gfx1030
amdhsa.version:
  - 1
  - 2
...

	.end_amdgpu_metadata
